;; amdgpu-corpus repo=ROCm/rocFFT kind=compiled arch=gfx1030 opt=O3
	.text
	.amdgcn_target "amdgcn-amd-amdhsa--gfx1030"
	.amdhsa_code_object_version 6
	.protected	fft_rtc_back_len1768_factors_17_13_8_wgs_136_tpt_136_halfLds_sp_op_CI_CI_unitstride_sbrr_dirReg ; -- Begin function fft_rtc_back_len1768_factors_17_13_8_wgs_136_tpt_136_halfLds_sp_op_CI_CI_unitstride_sbrr_dirReg
	.globl	fft_rtc_back_len1768_factors_17_13_8_wgs_136_tpt_136_halfLds_sp_op_CI_CI_unitstride_sbrr_dirReg
	.p2align	8
	.type	fft_rtc_back_len1768_factors_17_13_8_wgs_136_tpt_136_halfLds_sp_op_CI_CI_unitstride_sbrr_dirReg,@function
fft_rtc_back_len1768_factors_17_13_8_wgs_136_tpt_136_halfLds_sp_op_CI_CI_unitstride_sbrr_dirReg: ; @fft_rtc_back_len1768_factors_17_13_8_wgs_136_tpt_136_halfLds_sp_op_CI_CI_unitstride_sbrr_dirReg
; %bb.0:
	s_clause 0x2
	s_load_dwordx4 s[8:11], s[4:5], 0x0
	s_load_dwordx4 s[12:15], s[4:5], 0x58
	;; [unrolled: 1-line block ×3, first 2 shown]
	v_mul_u32_u24_e32 v2, 0x1e2, v0
	v_mov_b32_e32 v1, 0
	v_mov_b32_e32 v30, 0
	;; [unrolled: 1-line block ×3, first 2 shown]
	v_add_nc_u32_sdwa v3, s6, v2 dst_sel:DWORD dst_unused:UNUSED_PAD src0_sel:DWORD src1_sel:WORD_1
	v_mov_b32_e32 v4, v1
	s_waitcnt lgkmcnt(0)
	v_cmp_lt_u64_e64 s0, s[10:11], 2
	s_and_b32 vcc_lo, exec_lo, s0
	s_cbranch_vccnz .LBB0_8
; %bb.1:
	s_load_dwordx2 s[0:1], s[4:5], 0x10
	v_mov_b32_e32 v30, 0
	v_mov_b32_e32 v31, 0
	s_add_u32 s2, s18, 8
	s_addc_u32 s3, s19, 0
	v_mov_b32_e32 v24, v30
	s_add_u32 s6, s16, 8
	v_mov_b32_e32 v25, v31
	s_addc_u32 s7, s17, 0
	s_mov_b64 s[22:23], 1
	s_waitcnt lgkmcnt(0)
	s_add_u32 s20, s0, 8
	s_addc_u32 s21, s1, 0
.LBB0_2:                                ; =>This Inner Loop Header: Depth=1
	s_load_dwordx2 s[24:25], s[20:21], 0x0
                                        ; implicit-def: $vgpr28_vgpr29
	s_mov_b32 s0, exec_lo
	s_waitcnt lgkmcnt(0)
	v_or_b32_e32 v2, s25, v4
	v_cmpx_ne_u64_e32 0, v[1:2]
	s_xor_b32 s1, exec_lo, s0
	s_cbranch_execz .LBB0_4
; %bb.3:                                ;   in Loop: Header=BB0_2 Depth=1
	v_cvt_f32_u32_e32 v2, s24
	v_cvt_f32_u32_e32 v5, s25
	s_sub_u32 s0, 0, s24
	s_subb_u32 s26, 0, s25
	v_fmac_f32_e32 v2, 0x4f800000, v5
	v_rcp_f32_e32 v2, v2
	v_mul_f32_e32 v2, 0x5f7ffffc, v2
	v_mul_f32_e32 v5, 0x2f800000, v2
	v_trunc_f32_e32 v5, v5
	v_fmac_f32_e32 v2, 0xcf800000, v5
	v_cvt_u32_f32_e32 v5, v5
	v_cvt_u32_f32_e32 v2, v2
	v_mul_lo_u32 v6, s0, v5
	v_mul_hi_u32 v7, s0, v2
	v_mul_lo_u32 v8, s26, v2
	v_add_nc_u32_e32 v6, v7, v6
	v_mul_lo_u32 v7, s0, v2
	v_add_nc_u32_e32 v6, v6, v8
	v_mul_hi_u32 v8, v2, v7
	v_mul_lo_u32 v9, v2, v6
	v_mul_hi_u32 v10, v2, v6
	v_mul_hi_u32 v11, v5, v7
	v_mul_lo_u32 v7, v5, v7
	v_mul_hi_u32 v12, v5, v6
	v_mul_lo_u32 v6, v5, v6
	v_add_co_u32 v8, vcc_lo, v8, v9
	v_add_co_ci_u32_e32 v9, vcc_lo, 0, v10, vcc_lo
	v_add_co_u32 v7, vcc_lo, v8, v7
	v_add_co_ci_u32_e32 v7, vcc_lo, v9, v11, vcc_lo
	v_add_co_ci_u32_e32 v8, vcc_lo, 0, v12, vcc_lo
	v_add_co_u32 v6, vcc_lo, v7, v6
	v_add_co_ci_u32_e32 v7, vcc_lo, 0, v8, vcc_lo
	v_add_co_u32 v2, vcc_lo, v2, v6
	v_add_co_ci_u32_e32 v5, vcc_lo, v5, v7, vcc_lo
	v_mul_hi_u32 v6, s0, v2
	v_mul_lo_u32 v8, s26, v2
	v_mul_lo_u32 v7, s0, v5
	v_add_nc_u32_e32 v6, v6, v7
	v_mul_lo_u32 v7, s0, v2
	v_add_nc_u32_e32 v6, v6, v8
	v_mul_hi_u32 v8, v2, v7
	v_mul_lo_u32 v9, v2, v6
	v_mul_hi_u32 v10, v2, v6
	v_mul_hi_u32 v11, v5, v7
	v_mul_lo_u32 v7, v5, v7
	v_mul_hi_u32 v12, v5, v6
	v_mul_lo_u32 v6, v5, v6
	v_add_co_u32 v8, vcc_lo, v8, v9
	v_add_co_ci_u32_e32 v9, vcc_lo, 0, v10, vcc_lo
	v_add_co_u32 v7, vcc_lo, v8, v7
	v_add_co_ci_u32_e32 v7, vcc_lo, v9, v11, vcc_lo
	v_add_co_ci_u32_e32 v8, vcc_lo, 0, v12, vcc_lo
	v_add_co_u32 v6, vcc_lo, v7, v6
	v_add_co_ci_u32_e32 v7, vcc_lo, 0, v8, vcc_lo
	v_add_co_u32 v2, vcc_lo, v2, v6
	v_add_co_ci_u32_e32 v9, vcc_lo, v5, v7, vcc_lo
	v_mul_hi_u32 v11, v3, v2
	v_mad_u64_u32 v[7:8], null, v4, v2, 0
	v_mad_u64_u32 v[5:6], null, v3, v9, 0
	;; [unrolled: 1-line block ×3, first 2 shown]
	v_add_co_u32 v2, vcc_lo, v11, v5
	v_add_co_ci_u32_e32 v5, vcc_lo, 0, v6, vcc_lo
	v_add_co_u32 v2, vcc_lo, v2, v7
	v_add_co_ci_u32_e32 v2, vcc_lo, v5, v8, vcc_lo
	v_add_co_ci_u32_e32 v5, vcc_lo, 0, v10, vcc_lo
	v_add_co_u32 v2, vcc_lo, v2, v9
	v_add_co_ci_u32_e32 v7, vcc_lo, 0, v5, vcc_lo
	v_mul_lo_u32 v8, s25, v2
	v_mad_u64_u32 v[5:6], null, s24, v2, 0
	v_mul_lo_u32 v9, s24, v7
	v_sub_co_u32 v5, vcc_lo, v3, v5
	v_add3_u32 v6, v6, v9, v8
	v_sub_nc_u32_e32 v8, v4, v6
	v_subrev_co_ci_u32_e64 v8, s0, s25, v8, vcc_lo
	v_add_co_u32 v9, s0, v2, 2
	v_add_co_ci_u32_e64 v10, s0, 0, v7, s0
	v_sub_co_u32 v11, s0, v5, s24
	v_sub_co_ci_u32_e32 v6, vcc_lo, v4, v6, vcc_lo
	v_subrev_co_ci_u32_e64 v8, s0, 0, v8, s0
	v_cmp_le_u32_e32 vcc_lo, s24, v11
	v_cmp_eq_u32_e64 s0, s25, v6
	v_cndmask_b32_e64 v11, 0, -1, vcc_lo
	v_cmp_le_u32_e32 vcc_lo, s25, v8
	v_cndmask_b32_e64 v12, 0, -1, vcc_lo
	v_cmp_le_u32_e32 vcc_lo, s24, v5
	;; [unrolled: 2-line block ×3, first 2 shown]
	v_cndmask_b32_e64 v13, 0, -1, vcc_lo
	v_cmp_eq_u32_e32 vcc_lo, s25, v8
	v_cndmask_b32_e64 v5, v13, v5, s0
	v_cndmask_b32_e32 v8, v12, v11, vcc_lo
	v_add_co_u32 v11, vcc_lo, v2, 1
	v_add_co_ci_u32_e32 v12, vcc_lo, 0, v7, vcc_lo
	v_cmp_ne_u32_e32 vcc_lo, 0, v8
	v_cndmask_b32_e32 v6, v12, v10, vcc_lo
	v_cndmask_b32_e32 v8, v11, v9, vcc_lo
	v_cmp_ne_u32_e32 vcc_lo, 0, v5
	v_cndmask_b32_e32 v29, v7, v6, vcc_lo
	v_cndmask_b32_e32 v28, v2, v8, vcc_lo
.LBB0_4:                                ;   in Loop: Header=BB0_2 Depth=1
	s_andn2_saveexec_b32 s0, s1
	s_cbranch_execz .LBB0_6
; %bb.5:                                ;   in Loop: Header=BB0_2 Depth=1
	v_cvt_f32_u32_e32 v2, s24
	s_sub_i32 s1, 0, s24
	v_mov_b32_e32 v29, v1
	v_rcp_iflag_f32_e32 v2, v2
	v_mul_f32_e32 v2, 0x4f7ffffe, v2
	v_cvt_u32_f32_e32 v2, v2
	v_mul_lo_u32 v5, s1, v2
	v_mul_hi_u32 v5, v2, v5
	v_add_nc_u32_e32 v2, v2, v5
	v_mul_hi_u32 v2, v3, v2
	v_mul_lo_u32 v5, v2, s24
	v_add_nc_u32_e32 v6, 1, v2
	v_sub_nc_u32_e32 v5, v3, v5
	v_subrev_nc_u32_e32 v7, s24, v5
	v_cmp_le_u32_e32 vcc_lo, s24, v5
	v_cndmask_b32_e32 v5, v5, v7, vcc_lo
	v_cndmask_b32_e32 v2, v2, v6, vcc_lo
	v_cmp_le_u32_e32 vcc_lo, s24, v5
	v_add_nc_u32_e32 v6, 1, v2
	v_cndmask_b32_e32 v28, v2, v6, vcc_lo
.LBB0_6:                                ;   in Loop: Header=BB0_2 Depth=1
	s_or_b32 exec_lo, exec_lo, s0
	v_mul_lo_u32 v2, v29, s24
	v_mul_lo_u32 v7, v28, s25
	s_load_dwordx2 s[0:1], s[6:7], 0x0
	v_mad_u64_u32 v[5:6], null, v28, s24, 0
	s_load_dwordx2 s[24:25], s[2:3], 0x0
	s_add_u32 s22, s22, 1
	s_addc_u32 s23, s23, 0
	s_add_u32 s2, s2, 8
	s_addc_u32 s3, s3, 0
	s_add_u32 s6, s6, 8
	v_add3_u32 v2, v6, v7, v2
	v_sub_co_u32 v3, vcc_lo, v3, v5
	s_addc_u32 s7, s7, 0
	s_add_u32 s20, s20, 8
	v_sub_co_ci_u32_e32 v2, vcc_lo, v4, v2, vcc_lo
	s_addc_u32 s21, s21, 0
	s_waitcnt lgkmcnt(0)
	v_mul_lo_u32 v4, s0, v2
	v_mul_lo_u32 v5, s1, v3
	v_mad_u64_u32 v[30:31], null, s0, v3, v[30:31]
	v_mul_lo_u32 v2, s24, v2
	v_mul_lo_u32 v6, s25, v3
	v_mad_u64_u32 v[24:25], null, s24, v3, v[24:25]
	v_cmp_ge_u64_e64 s0, s[22:23], s[10:11]
	v_add3_u32 v31, v5, v31, v4
	v_add3_u32 v25, v6, v25, v2
	s_and_b32 vcc_lo, exec_lo, s0
	s_cbranch_vccnz .LBB0_9
; %bb.7:                                ;   in Loop: Header=BB0_2 Depth=1
	v_mov_b32_e32 v3, v28
	v_mov_b32_e32 v4, v29
	s_branch .LBB0_2
.LBB0_8:
	v_mov_b32_e32 v24, v30
	v_mov_b32_e32 v29, v4
	;; [unrolled: 1-line block ×4, first 2 shown]
.LBB0_9:
	s_load_dwordx2 s[0:1], s[4:5], 0x28
	v_mul_hi_u32 v1, 0x1e1e1e2, v0
	s_lshl_b64 s[4:5], s[10:11], 3
                                        ; implicit-def: $vgpr56
                                        ; implicit-def: $vgpr54
                                        ; implicit-def: $vgpr52
                                        ; implicit-def: $vgpr50
                                        ; implicit-def: $vgpr36
                                        ; implicit-def: $vgpr23
                                        ; implicit-def: $vgpr21
                                        ; implicit-def: $vgpr19
                                        ; implicit-def: $vgpr17
                                        ; implicit-def: $vgpr15
                                        ; implicit-def: $vgpr11
                                        ; implicit-def: $vgpr13
                                        ; implicit-def: $vgpr9
                                        ; implicit-def: $vgpr5
                                        ; implicit-def: $vgpr3
                                        ; implicit-def: $vgpr7
	s_add_u32 s2, s18, s4
	s_addc_u32 s3, s19, s5
	v_mul_u32_u24_e32 v1, 0x88, v1
	v_sub_nc_u32_e32 v26, v0, v1
	v_mov_b32_e32 v1, 0
	v_mov_b32_e32 v0, 0
	s_waitcnt lgkmcnt(0)
	v_cmp_gt_u64_e32 vcc_lo, s[0:1], v[28:29]
	v_cmp_gt_u32_e64 s0, 0x68, v26
	s_and_b32 s1, vcc_lo, s0
	s_and_saveexec_b32 s6, s1
	s_cbranch_execz .LBB0_11
; %bb.10:
	s_add_u32 s4, s16, s4
	s_addc_u32 s5, s17, s5
	v_mov_b32_e32 v27, 0
	s_load_dwordx2 s[4:5], s[4:5], 0x0
	v_or_b32_e32 v4, 0x680, v26
	s_waitcnt lgkmcnt(0)
	v_mul_lo_u32 v2, s5, v28
	v_mul_lo_u32 v3, s4, v29
	v_mad_u64_u32 v[0:1], null, s4, v28, 0
	v_add3_u32 v1, v1, v3, v2
	v_lshlrev_b64 v[2:3], 3, v[30:31]
	v_lshlrev_b64 v[0:1], 3, v[0:1]
	v_add_co_u32 v5, s1, s12, v0
	v_add_co_ci_u32_e64 v6, s1, s13, v1, s1
	v_lshlrev_b64 v[0:1], 3, v[26:27]
	v_add_co_u32 v34, s1, v5, v2
	v_add_co_ci_u32_e64 v37, s1, v6, v3, s1
	v_mov_b32_e32 v5, v27
	v_add_co_u32 v2, s1, v34, v0
	v_add_co_ci_u32_e64 v3, s1, v37, v1, s1
	v_lshlrev_b64 v[4:5], 3, v[4:5]
	v_add_co_u32 v6, s1, 0x800, v2
	v_add_co_ci_u32_e64 v7, s1, 0, v3, s1
	v_add_co_u32 v8, s1, 0x1000, v2
	v_add_co_ci_u32_e64 v9, s1, 0, v3, s1
	;; [unrolled: 2-line block ×5, first 2 shown]
	s_clause 0xb
	global_load_dwordx2 v[0:1], v[2:3], off
	global_load_dwordx2 v[55:56], v[2:3], off offset:832
	global_load_dwordx2 v[53:54], v[2:3], off offset:1664
	;; [unrolled: 1-line block ×11, first 2 shown]
	v_add_co_u32 v32, s1, 0x3000, v2
	v_add_co_ci_u32_e64 v33, s1, 0, v3, s1
	v_add_co_u32 v2, s1, v34, v4
	v_add_co_ci_u32_e64 v3, s1, v37, v5, s1
	s_clause 0x4
	global_load_dwordx2 v[12:13], v[12:13], off offset:1792
	global_load_dwordx2 v[8:9], v[30:31], off offset:576
	;; [unrolled: 1-line block ×4, first 2 shown]
	global_load_dwordx2 v[2:3], v[2:3], off
.LBB0_11:
	s_or_b32 exec_lo, exec_lo, s6
	s_waitcnt vmcnt(0)
	v_sub_f32_e32 v27, v56, v3
	v_add_f32_e32 v34, v55, v2
	v_sub_f32_e32 v32, v54, v7
	v_add_f32_e32 v38, v53, v6
	v_sub_f32_e32 v37, v52, v5
	v_mul_f32_e32 v62, 0xbf2c7751, v27
	v_mul_f32_e32 v70, 0xbf65296c, v27
	;; [unrolled: 1-line block ×4, first 2 shown]
	v_add_f32_e32 v39, v51, v4
	v_fma_f32 v30, 0x3f3d2fb0, v34, -v62
	v_fma_f32 v31, 0x3ee437d1, v34, -v70
	v_mul_f32_e32 v45, 0xbf4c4adb, v37
	v_fma_f32 v33, 0x3dbcf732, v38, -v65
	v_sub_f32_e32 v41, v50, v9
	v_add_f32_e32 v30, v0, v30
	v_fma_f32 v43, 0xbf1a4643, v38, -v67
	v_add_f32_e32 v31, v0, v31
	v_mul_f32_e32 v68, 0x3e3c28d5, v37
	v_add_f32_e32 v40, v49, v8
	v_fma_f32 v44, 0xbf1a4643, v39, -v45
	v_add_f32_e32 v30, v30, v33
	v_mul_f32_e32 v46, 0xbe3c28d5, v41
	v_sub_f32_e32 v42, v36, v13
	v_add_f32_e32 v31, v31, v43
	v_fma_f32 v33, 0xbf7ba420, v39, -v68
	v_mul_f32_e32 v72, 0x3f763a35, v41
	v_add_f32_e32 v30, v44, v30
	v_fma_f32 v43, 0xbf7ba420, v40, -v46
	v_add_f32_e32 v44, v35, v12
	v_add_f32_e32 v31, v33, v31
	v_fma_f32 v33, 0xbe8c1d8e, v40, -v72
	v_mul_f32_e32 v71, 0x3f2c7751, v42
	v_mul_f32_e32 v80, 0xbf7ee86f, v27
	;; [unrolled: 1-line block ×3, first 2 shown]
	v_add_f32_e32 v30, v43, v30
	v_sub_f32_e32 v43, v23, v11
	v_add_f32_e32 v31, v33, v31
	v_fma_f32 v33, 0x3f3d2fb0, v44, -v71
	v_fma_f32 v58, 0x3dbcf732, v34, -v80
	v_mul_f32_e32 v81, 0xbe3c28d5, v32
	v_fma_f32 v57, 0xbf59a7d5, v44, -v47
	v_add_f32_e32 v48, v22, v10
	v_mul_f32_e32 v63, 0x3f763a35, v43
	v_add_f32_e32 v31, v33, v31
	v_add_f32_e32 v33, v0, v58
	v_fma_f32 v58, 0xbf7ba420, v38, -v81
	v_mul_f32_e32 v79, 0x3f763a35, v37
	v_add_f32_e32 v30, v57, v30
	v_fma_f32 v57, 0xbe8c1d8e, v48, -v63
	v_mul_f32_e32 v78, 0x3eb8f4ab, v41
	v_add_f32_e32 v33, v33, v58
	v_fma_f32 v60, 0xbe8c1d8e, v39, -v79
	v_mul_f32_e32 v66, 0xbeb8f4ab, v43
	v_add_f32_e32 v30, v57, v30
	v_sub_f32_e32 v57, v21, v15
	v_mul_f32_e32 v77, 0xbf65296c, v42
	v_add_f32_e32 v33, v60, v33
	v_fma_f32 v60, 0x3f6eb680, v40, -v78
	v_fma_f32 v61, 0x3f6eb680, v48, -v66
	v_add_f32_e32 v59, v20, v14
	v_mul_f32_e32 v58, 0x3f65296c, v57
	v_fma_f32 v64, 0x3ee437d1, v44, -v77
	v_add_f32_e32 v33, v60, v33
	v_mul_f32_e32 v76, 0xbf06c442, v43
	v_add_f32_e32 v31, v61, v31
	v_fma_f32 v61, 0x3ee437d1, v59, -v58
	v_mul_f32_e32 v69, 0xbf7ee86f, v57
	v_sub_f32_e32 v60, v19, v17
	v_add_f32_e32 v33, v64, v33
	v_fma_f32 v74, 0xbf59a7d5, v48, -v76
	v_mul_f32_e32 v75, 0x3f4c4adb, v57
	v_add_f32_e32 v30, v61, v30
	v_fma_f32 v82, 0x3dbcf732, v59, -v69
	v_add_f32_e32 v64, v18, v16
	v_mul_f32_e32 v61, 0x3eb8f4ab, v60
	v_mul_f32_e32 v73, 0xbf06c442, v60
	v_add_f32_e32 v33, v74, v33
	v_fma_f32 v83, 0xbf1a4643, v59, -v75
	v_mul_f32_e32 v74, 0x3f2c7751, v60
	v_add_f32_e32 v82, v82, v31
	v_fma_f32 v31, 0x3f6eb680, v64, -v61
	v_fma_f32 v84, 0xbf59a7d5, v64, -v73
	v_add_f32_e32 v33, v83, v33
	v_fma_f32 v83, 0x3f3d2fb0, v64, -v74
	v_add_f32_e32 v31, v31, v30
	v_add_f32_e32 v30, v84, v82
	v_add_f32_e32 v33, v83, v33
	s_and_saveexec_b32 s1, s0
	s_cbranch_execz .LBB0_13
; %bb.12:
	v_mul_f32_e32 v82, 0xbf7ba420, v34
	v_mul_f32_e32 v83, 0x3f6eb680, v38
	;; [unrolled: 1-line block ×5, first 2 shown]
	v_fmamk_f32 v87, v27, 0x3e3c28d5, v82
	v_fmamk_f32 v91, v32, 0xbeb8f4ab, v83
	;; [unrolled: 1-line block ×3, first 2 shown]
	v_fmac_f32_e32 v82, 0xbe3c28d5, v27
	v_mul_f32_e32 v89, 0xbf59a7d5, v34
	v_add_f32_e32 v87, v0, v87
	v_fmac_f32_e32 v83, 0x3eb8f4ab, v32
	v_fmamk_f32 v96, v41, 0xbf2c7751, v85
	v_add_f32_e32 v82, v0, v82
	v_mul_f32_e32 v88, 0x3ee437d1, v48
	v_add_f32_e32 v87, v87, v91
	v_mul_f32_e32 v90, 0x3ee437d1, v38
	v_fmamk_f32 v91, v27, 0x3f06c442, v89
	v_fmac_f32_e32 v84, 0xbf06c442, v37
	v_fmamk_f32 v97, v42, 0x3f4c4adb, v86
	v_add_f32_e32 v87, v95, v87
	v_add_f32_e32 v82, v82, v83
	v_mul_f32_e32 v92, 0x3dbcf732, v39
	v_mul_f32_e32 v93, 0xbe8c1d8e, v59
	v_fmamk_f32 v95, v32, 0xbf65296c, v90
	v_add_f32_e32 v87, v96, v87
	v_fmamk_f32 v98, v43, 0xbf65296c, v88
	v_add_f32_e32 v83, v0, v91
	v_fmac_f32_e32 v85, 0x3f2c7751, v41
	v_add_f32_e32 v82, v84, v82
	v_add_f32_e32 v87, v97, v87
	v_mul_f32_e32 v94, 0x3dbcf732, v64
	v_fmamk_f32 v96, v37, 0x3f7ee86f, v92
	v_fmamk_f32 v91, v57, 0x3f763a35, v93
	v_add_f32_e32 v83, v83, v95
	v_add_f32_e32 v84, v98, v87
	v_mul_f32_e32 v87, 0xbf1a4643, v40
	v_fmac_f32_e32 v86, 0xbf4c4adb, v42
	v_add_f32_e32 v82, v85, v82
	v_add_f32_e32 v83, v96, v83
	;; [unrolled: 1-line block ×3, first 2 shown]
	v_fmamk_f32 v85, v60, 0xbf7ee86f, v94
	v_fmac_f32_e32 v88, 0x3f65296c, v43
	v_add_f32_e32 v82, v86, v82
	v_fmamk_f32 v86, v41, 0xbf4c4adb, v87
	v_mul_f32_e32 v91, 0x3f6eb680, v44
	v_fmac_f32_e32 v89, 0xbf06c442, v27
	v_add_f32_e32 v84, v85, v84
	v_add_f32_e32 v82, v88, v82
	v_add_f32_e32 v83, v86, v83
	v_fmamk_f32 v85, v42, 0x3eb8f4ab, v91
	v_mul_f32_e32 v86, 0xbf7ba420, v48
	v_add_f32_e32 v88, v0, v89
	v_fmac_f32_e32 v90, 0x3f65296c, v32
	v_mul_f32_e32 v89, 0x3f3d2fb0, v59
	v_add_f32_e32 v83, v85, v83
	v_fmamk_f32 v85, v43, 0x3e3c28d5, v86
	v_fmac_f32_e32 v92, 0xbf7ee86f, v37
	v_add_f32_e32 v88, v88, v90
	v_fmac_f32_e32 v93, 0xbf763a35, v57
	v_mul_f32_e32 v90, 0xbe8c1d8e, v64
	v_add_f32_e32 v83, v85, v83
	v_fmamk_f32 v85, v57, 0xbf2c7751, v89
	v_add_f32_e32 v88, v92, v88
	v_fmac_f32_e32 v87, 0x3f4c4adb, v41
	v_mul_f32_e32 v92, 0xbf1a4643, v34
	v_add_f32_e32 v82, v93, v82
	v_fmac_f32_e32 v94, 0x3f7ee86f, v60
	v_add_f32_e32 v83, v85, v83
	v_fmamk_f32 v85, v60, 0x3f763a35, v90
	v_add_f32_e32 v87, v87, v88
	v_fmamk_f32 v88, v27, 0x3f4c4adb, v92
	v_mul_f32_e32 v93, 0xbe8c1d8e, v38
	v_fmac_f32_e32 v91, 0xbeb8f4ab, v42
	v_add_f32_e32 v82, v94, v82
	v_add_f32_e32 v83, v85, v83
	v_add_f32_e32 v85, v0, v88
	v_fmamk_f32 v88, v32, 0xbf763a35, v93
	v_mul_f32_e32 v94, 0x3f6eb680, v39
	v_add_f32_e32 v87, v91, v87
	v_fmac_f32_e32 v92, 0xbf4c4adb, v27
	v_fmac_f32_e32 v86, 0xbe3c28d5, v43
	v_add_f32_e32 v85, v85, v88
	v_fmamk_f32 v88, v37, 0x3eb8f4ab, v94
	v_mul_f32_e32 v91, 0xbf59a7d5, v40
	v_add_f32_e32 v92, v0, v92
	v_fmac_f32_e32 v93, 0x3f763a35, v32
	v_add_f32_e32 v86, v86, v87
	v_add_f32_e32 v85, v88, v85
	v_fmamk_f32 v87, v41, 0x3f06c442, v91
	v_mul_f32_e32 v88, 0x3dbcf732, v44
	v_add_f32_e32 v92, v92, v93
	v_fmac_f32_e32 v94, 0xbeb8f4ab, v37
	v_mul_f32_e32 v93, 0x3f3d2fb0, v48
	v_add_f32_e32 v85, v87, v85
	v_fmamk_f32 v87, v42, 0xbf7ee86f, v88
	v_fmac_f32_e32 v89, 0x3f2c7751, v57
	v_add_f32_e32 v92, v94, v92
	v_fmac_f32_e32 v91, 0xbf06c442, v41
	v_fmac_f32_e32 v88, 0x3f7ee86f, v42
	v_add_f32_e32 v85, v87, v85
	v_fmamk_f32 v87, v43, 0x3f2c7751, v93
	v_add_f32_e32 v86, v89, v86
	v_mul_f32_e32 v89, 0xbf7ba420, v59
	v_add_f32_e32 v91, v91, v92
	v_fmac_f32_e32 v90, 0xbf763a35, v60
	v_add_f32_e32 v85, v87, v85
	v_mul_f32_e32 v87, 0xbe8c1d8e, v34
	v_fmamk_f32 v92, v57, 0x3e3c28d5, v89
	v_add_f32_e32 v88, v88, v91
	v_mul_f32_e32 v95, 0xbf59a7d5, v38
	v_fmac_f32_e32 v93, 0xbf2c7751, v43
	v_fmamk_f32 v91, v27, 0x3f763a35, v87
	v_fmac_f32_e32 v87, 0xbf763a35, v27
	v_add_f32_e32 v86, v90, v86
	v_add_f32_e32 v85, v92, v85
	v_mul_f32_e32 v92, 0x3f3d2fb0, v39
	v_add_f32_e32 v90, v0, v91
	v_fmamk_f32 v91, v32, 0xbf06c442, v95
	v_add_f32_e32 v87, v0, v87
	v_fmac_f32_e32 v95, 0x3f06c442, v32
	v_add_f32_e32 v88, v93, v88
	v_mul_f32_e32 v93, 0x3ee437d1, v40
	v_add_f32_e32 v90, v90, v91
	v_fmamk_f32 v91, v37, 0xbf2c7751, v92
	v_add_f32_e32 v87, v87, v95
	v_fmac_f32_e32 v92, 0x3f2c7751, v37
	v_fmac_f32_e32 v89, 0xbe3c28d5, v57
	v_mul_f32_e32 v94, 0x3ee437d1, v64
	v_add_f32_e32 v90, v91, v90
	v_fmamk_f32 v91, v41, 0x3f65296c, v93
	v_add_f32_e32 v87, v92, v87
	v_mul_f32_e32 v92, 0xbf7ba420, v44
	v_fmac_f32_e32 v93, 0xbf65296c, v41
	v_add_f32_e32 v88, v89, v88
	v_add_f32_e32 v89, v91, v90
	v_mul_f32_e32 v91, 0x3dbcf732, v48
	v_fmamk_f32 v90, v42, 0x3e3c28d5, v92
	v_add_f32_e32 v87, v93, v87
	v_fmac_f32_e32 v92, 0xbe3c28d5, v42
	v_mul_f32_e32 v93, 0x3dbcf732, v34
	v_fmamk_f32 v96, v60, 0xbf65296c, v94
	v_add_f32_e32 v89, v90, v89
	v_fmamk_f32 v90, v43, 0xbf7ee86f, v91
	v_add_f32_e32 v87, v92, v87
	v_mul_f32_e32 v92, 0x3f6eb680, v59
	v_fmac_f32_e32 v91, 0x3f7ee86f, v43
	v_add_f32_e32 v80, v80, v93
	v_mul_f32_e32 v93, 0xbf7ba420, v38
	v_add_f32_e32 v89, v90, v89
	v_fmamk_f32 v90, v57, 0x3eb8f4ab, v92
	v_add_f32_e32 v87, v91, v87
	v_fmac_f32_e32 v92, 0xbeb8f4ab, v57
	v_add_f32_e32 v80, v0, v80
	v_add_f32_e32 v81, v81, v93
	v_mul_f32_e32 v91, 0xbf1a4643, v64
	v_mul_f32_e32 v93, 0xbe8c1d8e, v39
	v_add_f32_e32 v87, v92, v87
	v_mul_f32_e32 v92, 0x3f3d2fb0, v34
	v_add_f32_e32 v80, v80, v81
	v_fmamk_f32 v81, v60, 0x3f4c4adb, v91
	v_fmac_f32_e32 v91, 0xbf4c4adb, v60
	v_add_f32_e32 v79, v79, v93
	v_mul_f32_e32 v93, 0x3ee437d1, v34
	v_add_f32_e32 v89, v90, v89
	v_mul_f32_e32 v90, 0x3dbcf732, v38
	v_add_f32_e32 v87, v91, v87
	v_mul_f32_e32 v91, 0x3f6eb680, v40
	v_add_f32_e32 v79, v79, v80
	v_mul_f32_e32 v80, 0xbf1a4643, v38
	v_add_f32_e32 v70, v70, v93
	v_add_f32_e32 v62, v62, v92
	;; [unrolled: 1-line block ×3, first 2 shown]
	v_mul_f32_e32 v91, 0x3ee437d1, v44
	v_add_f32_e32 v67, v67, v80
	v_mul_f32_e32 v80, 0xbf7ba420, v39
	v_add_f32_e32 v70, v0, v70
	v_add_f32_e32 v78, v78, v79
	;; [unrolled: 1-line block ×3, first 2 shown]
	v_mul_f32_e32 v91, 0xbe8c1d8e, v40
	v_add_f32_e32 v68, v68, v80
	v_add_f32_e32 v67, v70, v67
	v_mul_f32_e32 v93, 0xbf1a4643, v39
	v_add_f32_e32 v77, v77, v78
	v_mul_f32_e32 v78, 0x3f3d2fb0, v44
	v_add_f32_e32 v72, v72, v91
	v_add_f32_e32 v67, v68, v67
	v_mul_f32_e32 v68, 0x3f6eb680, v48
	v_add_f32_e32 v62, v0, v62
	v_add_f32_e32 v71, v71, v78
	;; [unrolled: 1-line block ×4, first 2 shown]
	v_mul_f32_e32 v79, 0xbf7ba420, v40
	v_add_f32_e32 v66, v66, v68
	v_add_f32_e32 v45, v45, v93
	;; [unrolled: 1-line block ×6, first 2 shown]
	v_mul_f32_e32 v70, 0xbf59a7d5, v48
	v_add_f32_e32 v45, v45, v62
	v_mul_f32_e32 v80, 0xbf59a7d5, v44
	v_add_f32_e32 v68, v71, v53
	;; [unrolled: 2-line block ×3, first 2 shown]
	v_add_f32_e32 v45, v46, v45
	v_mul_f32_e32 v76, 0xbe8c1d8e, v48
	v_add_f32_e32 v62, v68, v51
	v_add_f32_e32 v47, v47, v80
	v_mul_f32_e32 v38, 0x3f3d2fb0, v38
	v_mul_f32_e32 v39, 0x3ee437d1, v39
	v_mul_f32_e32 v40, 0x3dbcf732, v40
	v_add_f32_e32 v46, v62, v49
	v_add_f32_e32 v45, v47, v45
	;; [unrolled: 1-line block ×3, first 2 shown]
	v_fmamk_f32 v63, v27, 0x3eb8f4ab, v34
	v_fmac_f32_e32 v34, 0xbeb8f4ab, v27
	v_add_f32_e32 v46, v46, v35
	v_mul_f32_e32 v44, 0xbe8c1d8e, v44
	v_add_f32_e32 v27, v47, v45
	v_fmamk_f32 v45, v32, 0x3f2c7751, v38
	v_add_f32_e32 v34, v0, v34
	v_add_f32_e32 v46, v46, v22
	v_fmac_f32_e32 v38, 0xbf2c7751, v32
	v_fmamk_f32 v32, v37, 0x3f65296c, v39
	v_fmac_f32_e32 v39, 0xbf65296c, v37
	v_add_f32_e32 v0, v0, v63
	v_add_f32_e32 v46, v46, v20
	;; [unrolled: 1-line block ×3, first 2 shown]
	v_fmamk_f32 v38, v41, 0x3f7ee86f, v40
	v_fmac_f32_e32 v40, 0xbf7ee86f, v41
	v_add_f32_e32 v0, v0, v45
	v_add_f32_e32 v46, v46, v18
	;; [unrolled: 1-line block ×3, first 2 shown]
	v_mul_f32_e32 v39, 0xbf1a4643, v48
	v_mul_f32_e32 v91, 0x3ee437d1, v59
	v_add_f32_e32 v0, v32, v0
	v_add_f32_e32 v37, v46, v16
	v_fmamk_f32 v32, v42, 0x3f763a35, v44
	v_add_f32_e32 v34, v40, v34
	v_fmac_f32_e32 v44, 0xbf763a35, v42
	v_add_f32_e32 v0, v38, v0
	v_add_f32_e32 v37, v37, v14
	v_fmamk_f32 v38, v43, 0x3f4c4adb, v39
	v_mul_f32_e32 v40, 0xbf59a7d5, v59
	v_add_f32_e32 v34, v44, v34
	v_fmac_f32_e32 v39, 0xbf4c4adb, v43
	v_add_f32_e32 v37, v37, v10
	v_add_f32_e32 v70, v70, v77
	v_mul_f32_e32 v77, 0x3dbcf732, v59
	v_mul_f32_e32 v92, 0xbf1a4643, v59
	v_add_f32_e32 v0, v32, v0
	v_add_f32_e32 v37, v37, v12
	v_fmamk_f32 v32, v57, 0x3f06c442, v40
	v_mul_f32_e32 v41, 0xbf7ba420, v64
	v_add_f32_e32 v34, v39, v34
	v_fmac_f32_e32 v40, 0xbf06c442, v57
	v_add_f32_e32 v37, v37, v8
	v_mul_f32_e32 v72, 0x3f6eb680, v64
	v_mul_f32_e32 v78, 0xbf59a7d5, v64
	v_add_f32_e32 v66, v66, v67
	v_add_f32_e32 v67, v69, v77
	v_add_f32_e32 v37, v37, v4
	v_add_f32_e32 v39, v58, v91
	v_mul_f32_e32 v90, 0x3f3d2fb0, v64
	v_add_f32_e32 v65, v75, v92
	v_add_f32_e32 v0, v38, v0
	v_fmamk_f32 v38, v60, 0x3e3c28d5, v41
	v_add_f32_e32 v34, v40, v34
	v_fmac_f32_e32 v41, 0xbe3c28d5, v60
	v_add_f32_e32 v37, v37, v6
	v_add_f32_e32 v66, v67, v66
	;; [unrolled: 1-line block ×7, first 2 shown]
	v_fmac_f32_e32 v94, 0x3f65296c, v60
	v_add_f32_e32 v0, v32, v0
	v_add_f32_e32 v32, v41, v34
	;; [unrolled: 1-line block ×3, first 2 shown]
	v_mad_u32_u24 v37, 0x44, v26, 0
	v_add_f32_e32 v66, v67, v66
	v_add_f32_e32 v27, v39, v27
	v_add_f32_e32 v39, v62, v65
	v_add_f32_e32 v88, v94, v88
	v_add_f32_e32 v85, v96, v85
	v_add_f32_e32 v40, v81, v89
	v_add_f32_e32 v0, v38, v0
	ds_write2_b32 v37, v34, v32 offset1:1
	ds_write2_b32 v37, v27, v66 offset0:2 offset1:3
	ds_write2_b32 v37, v39, v87 offset0:4 offset1:5
	;; [unrolled: 1-line block ×7, first 2 shown]
	ds_write_b32 v37, v0 offset:64
.LBB0_13:
	s_or_b32 exec_lo, exec_lo, s1
	v_sub_f32_e32 v83, v55, v2
	v_add_f32_e32 v81, v56, v3
	v_sub_f32_e32 v75, v53, v6
	v_add_f32_e32 v74, v54, v7
	v_sub_f32_e32 v69, v51, v4
	v_mul_f32_e32 v85, 0xbf2c7751, v83
	v_mul_f32_e32 v86, 0xbf65296c, v83
	;; [unrolled: 1-line block ×5, first 2 shown]
	v_fmamk_f32 v0, v81, 0x3f3d2fb0, v85
	v_fmamk_f32 v2, v81, 0x3ee437d1, v86
	v_mul_f32_e32 v79, 0xbe3c28d5, v75
	v_fmamk_f32 v4, v81, 0x3dbcf732, v84
	v_fmamk_f32 v6, v74, 0x3dbcf732, v82
	v_add_f32_e32 v0, v1, v0
	v_fmamk_f32 v27, v74, 0xbf1a4643, v80
	v_add_f32_e32 v2, v1, v2
	v_add_f32_e32 v70, v52, v5
	v_mul_f32_e32 v76, 0xbf4c4adb, v69
	v_mul_f32_e32 v77, 0x3e3c28d5, v69
	v_sub_f32_e32 v65, v49, v8
	v_fmamk_f32 v32, v74, 0xbf7ba420, v79
	v_add_f32_e32 v4, v1, v4
	v_add_f32_e32 v0, v0, v6
	v_add_f32_e32 v2, v2, v27
	v_fmamk_f32 v6, v70, 0xbf1a4643, v76
	v_fmamk_f32 v8, v70, 0xbf7ba420, v77
	v_mul_f32_e32 v78, 0x3f763a35, v69
	v_add_f32_e32 v64, v50, v9
	v_mul_f32_e32 v71, 0xbe3c28d5, v65
	v_sub_f32_e32 v60, v35, v12
	v_add_f32_e32 v4, v4, v32
	v_add_f32_e32 v0, v6, v0
	;; [unrolled: 1-line block ×3, first 2 shown]
	v_fmamk_f32 v6, v70, 0xbe8c1d8e, v78
	v_fmamk_f32 v8, v64, 0xbf7ba420, v71
	v_mul_f32_e32 v73, 0x3f763a35, v65
	v_mul_f32_e32 v72, 0x3eb8f4ab, v65
	v_add_f32_e32 v51, v36, v13
	v_mul_f32_e32 v66, 0x3f06c442, v60
	v_add_f32_e32 v4, v6, v4
	v_fmamk_f32 v6, v64, 0xbe8c1d8e, v73
	v_fmamk_f32 v12, v64, 0x3f6eb680, v72
	v_add_f32_e32 v0, v8, v0
	v_fmamk_f32 v8, v51, 0xbf59a7d5, v66
	v_mul_f32_e32 v67, 0x3f2c7751, v60
	v_sub_f32_e32 v10, v22, v10
	v_add_f32_e32 v2, v6, v2
	v_add_f32_e32 v6, v12, v4
	;; [unrolled: 1-line block ×3, first 2 shown]
	v_fmamk_f32 v4, v51, 0x3f3d2fb0, v67
	v_add_f32_e32 v8, v23, v11
	v_mul_f32_e32 v62, 0xbeb8f4ab, v10
	v_mul_f32_e32 v68, 0xbf65296c, v60
	;; [unrolled: 1-line block ×3, first 2 shown]
	v_add_f32_e32 v12, v4, v2
	v_sub_f32_e32 v4, v20, v14
	v_fmamk_f32 v27, v8, 0x3f6eb680, v62
	v_fmamk_f32 v22, v51, 0x3ee437d1, v68
	;; [unrolled: 1-line block ×3, first 2 shown]
	v_add_f32_e32 v2, v21, v15
	v_mul_f32_e32 v14, 0x3f65296c, v4
	v_add_f32_e32 v34, v27, v12
	v_lshl_add_u32 v27, v26, 2, 0
	v_mul_f32_e32 v63, 0xbf06c442, v10
	v_add_f32_e32 v6, v22, v6
	v_add_f32_e32 v22, v20, v0
	v_fmamk_f32 v32, v2, 0x3ee437d1, v14
	v_add_nc_u32_e32 v58, 0x400, v27
	v_add_nc_u32_e32 v59, 0x800, v27
	;; [unrolled: 1-line block ×3, first 2 shown]
	v_fmamk_f32 v0, v8, 0xbf59a7d5, v63
	v_add_nc_u32_e32 v57, 0x1000, v27
	v_add_nc_u32_e32 v55, 0x1400, v27
	v_add_f32_e32 v37, v32, v22
	s_waitcnt lgkmcnt(0)
	s_barrier
	buffer_gl0_inv
	ds_read2_b32 v[38:39], v27 offset1:136
	ds_read2_b32 v[44:45], v58 offset0:16 offset1:152
	ds_read2_b32 v[48:49], v59 offset0:32 offset1:168
	ds_read_b32 v32, v27 offset:6528
	ds_read2_b32 v[46:47], v53 offset0:48 offset1:184
	ds_read2_b32 v[42:43], v57 offset0:64 offset1:200
	ds_read2_b32 v[40:41], v55 offset0:80 offset1:216
	v_mul_f32_e32 v12, 0xbf7ee86f, v4
	v_mul_f32_e32 v20, 0x3f4c4adb, v4
	v_add_f32_e32 v35, v0, v6
	v_sub_f32_e32 v0, v18, v16
	v_add_f32_e32 v6, v19, v17
	v_fmamk_f32 v87, v2, 0x3dbcf732, v12
	v_fmamk_f32 v88, v2, 0xbf1a4643, v20
	s_waitcnt lgkmcnt(0)
	v_mul_f32_e32 v22, 0x3eb8f4ab, v0
	v_mul_f32_e32 v16, 0xbf06c442, v0
	;; [unrolled: 1-line block ×3, first 2 shown]
	v_add_f32_e32 v34, v87, v34
	v_add_f32_e32 v87, v88, v35
	v_fmamk_f32 v35, v6, 0x3f6eb680, v22
	v_fmamk_f32 v88, v6, 0xbf59a7d5, v16
	;; [unrolled: 1-line block ×3, first 2 shown]
	s_barrier
	buffer_gl0_inv
	v_add_f32_e32 v35, v35, v37
	v_add_f32_e32 v34, v88, v34
	;; [unrolled: 1-line block ×3, first 2 shown]
	s_and_saveexec_b32 s1, s0
	s_cbranch_execz .LBB0_15
; %bb.14:
	v_add_f32_e32 v56, v1, v56
	v_mul_f32_e32 v87, 0x3f3d2fb0, v81
	v_mul_f32_e32 v90, 0x3dbcf732, v74
	;; [unrolled: 1-line block ×4, first 2 shown]
	v_add_f32_e32 v54, v56, v54
	v_sub_f32_e32 v85, v87, v85
	v_mul_f32_e32 v106, 0xbf763a35, v83
	v_mul_f32_e32 v107, 0xbf4c4adb, v83
	;; [unrolled: 1-line block ×3, first 2 shown]
	v_add_f32_e32 v52, v54, v52
	v_mul_f32_e32 v56, 0xbf1a4643, v74
	v_sub_f32_e32 v86, v88, v86
	v_sub_f32_e32 v84, v89, v84
	v_fma_f32 v87, 0xbe8c1d8e, v81, -v106
	v_add_f32_e32 v50, v52, v50
	v_fmac_f32_e32 v106, 0xbe8c1d8e, v81
	v_fma_f32 v88, 0xbf59a7d5, v81, -v108
	v_fmac_f32_e32 v108, 0xbf59a7d5, v81
	v_mul_f32_e32 v91, 0xbf7ba420, v74
	v_add_f32_e32 v36, v50, v36
	v_add_f32_e32 v84, v1, v84
	v_mul_f32_e32 v92, 0xbf1a4643, v70
	v_mul_f32_e32 v54, 0xbe8c1d8e, v70
	;; [unrolled: 1-line block ×3, first 2 shown]
	v_add_f32_e32 v23, v36, v23
	v_mul_f32_e32 v94, 0xbf7ba420, v64
	v_mul_f32_e32 v95, 0xbe8c1d8e, v64
	v_sub_f32_e32 v54, v54, v78
	v_mul_f32_e32 v96, 0x3f6eb680, v64
	v_add_f32_e32 v21, v23, v21
	v_mul_f32_e32 v23, 0xbeb8f4ab, v83
	v_mul_f32_e32 v52, 0xbf59a7d5, v51
	;; [unrolled: 1-line block ×4, first 2 shown]
	v_add_f32_e32 v19, v21, v19
	v_mul_f32_e32 v21, 0xbe3c28d5, v83
	v_mul_f32_e32 v83, 0xbf2c7751, v75
	v_sub_f32_e32 v52, v52, v66
	v_mul_f32_e32 v66, 0xbeb8f4ab, v60
	v_add_f32_e32 v17, v19, v17
	v_fma_f32 v19, 0x3f6eb680, v81, -v23
	v_fmac_f32_e32 v23, 0x3f6eb680, v81
	v_mul_f32_e32 v50, 0x3f6eb680, v8
	v_mul_f32_e32 v99, 0xbe8c1d8e, v8
	v_add_f32_e32 v15, v17, v15
	v_fma_f32 v17, 0xbf1a4643, v81, -v107
	v_fmac_f32_e32 v107, 0xbf1a4643, v81
	v_add_f32_e32 v23, v1, v23
	v_add_f32_e32 v19, v1, v19
	;; [unrolled: 1-line block ×3, first 2 shown]
	v_fma_f32 v15, 0xbf7ba420, v81, -v21
	v_fmac_f32_e32 v21, 0xbf7ba420, v81
	v_fma_f32 v81, 0x3f3d2fb0, v74, -v83
	v_fmac_f32_e32 v83, 0x3f3d2fb0, v74
	v_add_f32_e32 v11, v11, v13
	v_sub_f32_e32 v13, v90, v82
	v_add_f32_e32 v82, v1, v86
	v_add_f32_e32 v17, v1, v17
	;; [unrolled: 1-line block ×10, first 2 shown]
	v_mul_f32_e32 v13, 0x3f763a35, v75
	v_add_f32_e32 v9, v1, v106
	v_add_f32_e32 v19, v19, v81
	;; [unrolled: 1-line block ×5, first 2 shown]
	v_sub_f32_e32 v21, v56, v80
	v_fma_f32 v80, 0xbe8c1d8e, v74, -v13
	v_add_f32_e32 v3, v3, v5
	v_add_f32_e32 v5, v23, v83
	v_mul_f32_e32 v23, 0x3f06c442, v75
	v_sub_f32_e32 v56, v91, v79
	v_mul_f32_e32 v81, 0x3f65296c, v75
	v_add_f32_e32 v17, v17, v80
	v_mul_f32_e32 v75, 0x3eb8f4ab, v75
	v_fma_f32 v79, 0xbf59a7d5, v74, -v23
	v_fmac_f32_e32 v23, 0xbf59a7d5, v74
	v_mul_f32_e32 v80, 0xbf65296c, v69
	v_add_f32_e32 v21, v82, v21
	v_fmac_f32_e32 v13, 0xbe8c1d8e, v74
	v_fma_f32 v82, 0x3f6eb680, v74, -v75
	v_add_f32_e32 v9, v9, v23
	v_fma_f32 v23, 0x3ee437d1, v74, -v81
	v_fmac_f32_e32 v81, 0x3ee437d1, v74
	v_fmac_f32_e32 v75, 0x3f6eb680, v74
	v_fma_f32 v74, 0x3ee437d1, v70, -v80
	v_add_f32_e32 v56, v84, v56
	v_add_f32_e32 v13, v86, v13
	;; [unrolled: 1-line block ×5, first 2 shown]
	v_sub_f32_e32 v74, v92, v76
	v_sub_f32_e32 v75, v93, v77
	v_add_f32_e32 v54, v54, v56
	v_mul_f32_e32 v77, 0xbf7ee86f, v69
	v_mul_f32_e32 v76, 0x3f2c7751, v69
	v_add_f32_e32 v11, v74, v11
	v_mul_f32_e32 v74, 0xbeb8f4ab, v69
	v_mul_f32_e32 v69, 0xbf06c442, v69
	v_add_f32_e32 v15, v15, v82
	v_fmac_f32_e32 v80, 0x3ee437d1, v70
	v_add_f32_e32 v21, v75, v21
	v_fma_f32 v56, 0x3f6eb680, v70, -v74
	v_fmac_f32_e32 v74, 0x3f6eb680, v70
	v_fma_f32 v75, 0x3f3d2fb0, v70, -v76
	v_fmac_f32_e32 v76, 0x3f3d2fb0, v70
	v_add_f32_e32 v5, v80, v5
	v_add_f32_e32 v17, v56, v17
	v_fma_f32 v56, 0x3dbcf732, v70, -v77
	v_add_f32_e32 v13, v74, v13
	v_mul_f32_e32 v74, 0xbf7ee86f, v65
	v_fmac_f32_e32 v77, 0x3dbcf732, v70
	v_add_f32_e32 v9, v76, v9
	v_add_f32_e32 v23, v56, v23
	v_fma_f32 v56, 0xbf59a7d5, v70, -v69
	v_fmac_f32_e32 v69, 0xbf59a7d5, v70
	v_fma_f32 v70, 0x3dbcf732, v64, -v74
	v_fmac_f32_e32 v74, 0x3dbcf732, v64
	v_sub_f32_e32 v50, v50, v62
	v_add_f32_e32 v15, v56, v15
	v_sub_f32_e32 v56, v94, v71
	v_add_f32_e32 v1, v69, v1
	v_add_f32_e32 v19, v70, v19
	v_sub_f32_e32 v69, v95, v73
	v_mul_f32_e32 v70, 0xbf65296c, v65
	v_sub_f32_e32 v71, v96, v72
	v_add_f32_e32 v11, v56, v11
	v_mul_f32_e32 v56, 0xbf06c442, v65
	v_add_f32_e32 v21, v69, v21
	v_fma_f32 v69, 0x3ee437d1, v64, -v70
	v_add_f32_e32 v54, v71, v54
	v_fmac_f32_e32 v70, 0x3ee437d1, v64
	v_fma_f32 v71, 0xbf59a7d5, v64, -v56
	v_mul_f32_e32 v72, 0x3f4c4adb, v65
	v_fmac_f32_e32 v56, 0xbf59a7d5, v64
	v_mul_f32_e32 v65, 0x3f2c7751, v65
	v_add_f32_e32 v9, v70, v9
	v_add_f32_e32 v5, v74, v5
	v_fma_f32 v70, 0xbf1a4643, v64, -v72
	v_add_f32_e32 v13, v56, v13
	v_mul_f32_e32 v56, 0xbf763a35, v60
	v_fmac_f32_e32 v72, 0xbf1a4643, v64
	v_add_f32_e32 v11, v52, v11
	v_add_f32_e32 v23, v70, v23
	v_fma_f32 v70, 0x3f3d2fb0, v64, -v65
	v_fmac_f32_e32 v65, 0x3f3d2fb0, v64
	v_fma_f32 v64, 0xbe8c1d8e, v51, -v56
	v_fmac_f32_e32 v56, 0xbe8c1d8e, v51
	v_mul_f32_e32 v52, 0x3f7ee86f, v60
	v_mul_f32_e32 v100, 0xbf59a7d5, v8
	v_add_f32_e32 v1, v65, v1
	v_add_f32_e32 v19, v64, v19
	;; [unrolled: 1-line block ×3, first 2 shown]
	v_sub_f32_e32 v56, v97, v67
	v_mul_f32_e32 v64, 0xbe3c28d5, v60
	v_sub_f32_e32 v65, v98, v68
	v_mul_f32_e32 v60, 0xbf4c4adb, v60
	v_mul_f32_e32 v101, 0x3ee437d1, v2
	v_add_f32_e32 v21, v56, v21
	v_fma_f32 v56, 0xbf7ba420, v51, -v64
	v_add_f32_e32 v54, v65, v54
	v_fmac_f32_e32 v64, 0xbf7ba420, v51
	v_fma_f32 v65, 0x3dbcf732, v51, -v52
	v_fmac_f32_e32 v52, 0x3dbcf732, v51
	v_add_f32_e32 v21, v50, v21
	v_mul_f32_e32 v102, 0x3dbcf732, v2
	v_add_f32_e32 v9, v64, v9
	v_fma_f32 v64, 0x3f6eb680, v51, -v66
	v_add_f32_e32 v13, v52, v13
	v_mul_f32_e32 v52, 0xbf4c4adb, v10
	v_fmac_f32_e32 v66, 0x3f6eb680, v51
	v_add_f32_e32 v17, v71, v17
	v_add_f32_e32 v23, v64, v23
	v_fma_f32 v64, 0xbf1a4643, v51, -v60
	v_fmac_f32_e32 v60, 0xbf1a4643, v51
	v_fma_f32 v51, 0xbf1a4643, v8, -v52
	v_fmac_f32_e32 v52, 0xbf1a4643, v8
	v_sub_f32_e32 v12, v102, v12
	v_add_f32_e32 v79, v85, v79
	v_add_f32_e32 v1, v60, v1
	;; [unrolled: 1-line block ×4, first 2 shown]
	v_mul_f32_e32 v52, 0x3f7ee86f, v10
	v_sub_f32_e32 v51, v99, v61
	v_mul_f32_e32 v61, 0xbe3c28d5, v10
	v_sub_f32_e32 v60, v100, v63
	v_mul_f32_e32 v36, 0xbf1a4643, v2
	v_fma_f32 v50, 0x3dbcf732, v8, -v52
	v_fmac_f32_e32 v52, 0x3dbcf732, v8
	v_add_f32_e32 v11, v51, v11
	v_mul_f32_e32 v51, 0xbf2c7751, v10
	v_mul_f32_e32 v10, 0x3f65296c, v10
	v_add_f32_e32 v54, v60, v54
	v_add_f32_e32 v9, v52, v9
	v_fma_f32 v52, 0xbf7ba420, v8, -v61
	v_fma_f32 v60, 0x3f3d2fb0, v8, -v51
	v_fmac_f32_e32 v51, 0x3f3d2fb0, v8
	v_add_f32_e32 v17, v65, v17
	v_fmac_f32_e32 v61, 0xbf7ba420, v8
	v_add_f32_e32 v23, v52, v23
	v_fma_f32 v52, 0x3ee437d1, v8, -v10
	v_fmac_f32_e32 v10, 0x3ee437d1, v8
	v_add_f32_e32 v13, v51, v13
	v_mul_f32_e32 v51, 0xbf06c442, v4
	v_add_f32_e32 v12, v12, v21
	v_add_f32_e32 v7, v7, v81
	;; [unrolled: 1-line block ×3, first 2 shown]
	v_sub_f32_e32 v10, v101, v14
	v_fma_f32 v8, 0xbf59a7d5, v2, -v51
	v_mul_f32_e32 v14, 0xbeb8f4ab, v4
	v_add_f32_e32 v75, v75, v79
	v_add_f32_e32 v17, v60, v17
	;; [unrolled: 1-line block ×3, first 2 shown]
	v_mul_f32_e32 v11, 0xbe3c28d5, v4
	v_fmac_f32_e32 v51, 0xbf59a7d5, v2
	v_add_f32_e32 v8, v8, v19
	v_sub_f32_e32 v19, v36, v20
	v_fma_f32 v20, 0x3f6eb680, v2, -v14
	v_fma_f32 v21, 0xbf7ba420, v2, -v11
	v_fmac_f32_e32 v11, 0xbf7ba420, v2
	v_fmac_f32_e32 v14, 0x3f6eb680, v2
	v_mul_f32_e32 v36, 0x3f2c7751, v4
	v_mul_f32_e32 v4, 0xbf763a35, v4
	v_add_f32_e32 v7, v77, v7
	v_add_f32_e32 v11, v11, v13
	v_mul_f32_e32 v13, 0xbe3c28d5, v0
	v_add_f32_e32 v69, v69, v75
	v_mul_f32_e32 v103, 0x3f6eb680, v6
	v_mul_f32_e32 v104, 0xbf59a7d5, v6
	;; [unrolled: 1-line block ×3, first 2 shown]
	v_add_f32_e32 v5, v51, v5
	v_add_f32_e32 v9, v14, v9
	;; [unrolled: 1-line block ×3, first 2 shown]
	v_fma_f32 v17, 0x3f3d2fb0, v2, -v36
	v_fmac_f32_e32 v36, 0x3f3d2fb0, v2
	v_fma_f32 v21, 0xbe8c1d8e, v2, -v4
	v_fmac_f32_e32 v4, 0xbe8c1d8e, v2
	;; [unrolled: 2-line block ×3, first 2 shown]
	v_add_f32_e32 v15, v70, v15
	v_add_f32_e32 v7, v72, v7
	v_add_f32_e32 v56, v56, v69
	v_add_f32_e32 v19, v19, v54
	v_add_f32_e32 v1, v4, v1
	v_add_f32_e32 v2, v2, v8
	v_sub_f32_e32 v4, v103, v22
	v_mul_f32_e32 v8, 0xbf4c4adb, v0
	v_add_f32_e32 v5, v13, v5
	v_sub_f32_e32 v13, v104, v16
	v_sub_f32_e32 v16, v105, v18
	v_mul_f32_e32 v18, 0x3f65296c, v0
	v_add_f32_e32 v15, v64, v15
	v_add_f32_e32 v7, v66, v7
	;; [unrolled: 1-line block ×4, first 2 shown]
	v_fma_f32 v10, 0xbf1a4643, v6, -v8
	v_add_f32_e32 v12, v13, v12
	v_add_f32_e32 v13, v16, v19
	v_fmac_f32_e32 v8, 0xbf1a4643, v6
	v_fma_f32 v16, 0x3ee437d1, v6, -v18
	v_mul_f32_e32 v19, 0xbf763a35, v0
	v_add_f32_e32 v15, v52, v15
	v_mul_f32_e32 v0, 0x3f7ee86f, v0
	v_add_f32_e32 v7, v61, v7
	v_add_f32_e32 v20, v20, v50
	;; [unrolled: 1-line block ×5, first 2 shown]
	v_fma_f32 v14, 0xbe8c1d8e, v6, -v19
	v_add_f32_e32 v15, v21, v15
	v_fma_f32 v16, 0x3dbcf732, v6, -v0
	v_fmac_f32_e32 v0, 0x3dbcf732, v6
	v_add_f32_e32 v7, v36, v7
	v_fmac_f32_e32 v18, 0x3ee437d1, v6
	v_fmac_f32_e32 v19, 0xbe8c1d8e, v6
	v_lshl_add_u32 v6, v26, 6, v27
	v_add_f32_e32 v10, v10, v20
	v_add_f32_e32 v14, v14, v17
	;; [unrolled: 1-line block ×6, first 2 shown]
	ds_write2_b32 v6, v3, v2 offset1:1
	ds_write2_b32 v6, v4, v12 offset0:2 offset1:3
	ds_write2_b32 v6, v13, v10 offset0:4 offset1:5
	;; [unrolled: 1-line block ×7, first 2 shown]
	ds_write_b32 v6, v5 offset:64
.LBB0_15:
	s_or_b32 exec_lo, exec_lo, s1
	v_and_b32_e32 v0, 0xff, v26
	v_mov_b32_e32 v1, 12
	s_load_dwordx2 s[2:3], s[2:3], 0x0
	s_waitcnt lgkmcnt(0)
	s_barrier
	v_mul_lo_u16 v0, 0xf1, v0
	buffer_gl0_inv
	v_mov_b32_e32 v54, 0x374
	v_mov_b32_e32 v56, 2
	v_cmp_gt_u32_e64 s0, 0x55, v26
	v_lshrrev_b16 v36, 12, v0
	v_mul_lo_u16 v0, v36, 17
	v_mul_u32_u24_sdwa v36, v36, v54 dst_sel:DWORD dst_unused:UNUSED_PAD src0_sel:WORD_0 src1_sel:DWORD
	v_add_nc_u32_e32 v54, 0x1480, v27
	v_sub_nc_u16 v52, v26, v0
	v_mul_u32_u24_sdwa v0, v52, v1 dst_sel:DWORD dst_unused:UNUSED_PAD src0_sel:BYTE_0 src1_sel:DWORD
	v_lshlrev_b32_e32 v16, 3, v0
	s_clause 0x5
	global_load_dwordx4 v[12:15], v16, s[8:9]
	global_load_dwordx4 v[8:11], v16, s[8:9] offset:16
	global_load_dwordx4 v[4:7], v16, s[8:9] offset:32
	;; [unrolled: 1-line block ×5, first 2 shown]
	ds_read2_b32 v[50:51], v27 offset1:136
	ds_read2_b32 v[65:66], v58 offset0:16 offset1:152
	ds_read2_b32 v[67:68], v59 offset0:32 offset1:168
	;; [unrolled: 1-line block ×5, first 2 shown]
	ds_read_b32 v75, v27 offset:6528
	v_lshlrev_b32_sdwa v55, v56, v52 dst_sel:DWORD dst_unused:UNUSED_PAD src0_sel:DWORD src1_sel:BYTE_0
	v_add_nc_u32_e32 v52, 0x680, v27
	v_add_nc_u32_e32 v53, 0xd80, v27
	s_waitcnt vmcnt(0) lgkmcnt(0)
	s_barrier
	v_add3_u32 v55, 0, v36, v55
	buffer_gl0_inv
	v_mul_f32_e32 v63, v51, v13
	v_mul_f32_e32 v61, v65, v15
	;; [unrolled: 1-line block ×5, first 2 shown]
	v_fmac_f32_e32 v63, v39, v12
	v_mul_f32_e32 v76, v39, v13
	v_mul_f32_e32 v59, v66, v9
	;; [unrolled: 1-line block ×4, first 2 shown]
	v_fmac_f32_e32 v61, v44, v14
	v_fma_f32 v39, v65, v14, -v77
	v_fmac_f32_e32 v15, v47, v0
	v_fma_f32 v14, v70, v0, -v1
	v_add_f32_e32 v0, v38, v63
	v_mul_f32_e32 v9, v45, v9
	v_mul_f32_e32 v57, v67, v11
	;; [unrolled: 1-line block ×15, first 2 shown]
	v_fma_f32 v51, v51, v12, -v76
	v_fmac_f32_e32 v59, v45, v8
	v_fmac_f32_e32 v64, v32, v18
	v_fma_f32 v18, v75, v18, -v81
	v_add_f32_e32 v0, v0, v61
	v_fma_f32 v23, v66, v8, -v9
	v_fmac_f32_e32 v57, v48, v10
	v_fma_f32 v21, v67, v10, -v11
	v_fma_f32 v17, v68, v4, -v5
	;; [unrolled: 1-line block ×3, first 2 shown]
	v_fmac_f32_e32 v56, v42, v2
	v_fma_f32 v19, v71, v2, -v3
	v_fmac_f32_e32 v58, v43, v20
	v_fma_f32 v20, v72, v20, -v78
	;; [unrolled: 2-line block ×4, first 2 shown]
	v_sub_f32_e32 v2, v51, v18
	v_add_f32_e32 v0, v0, v59
	v_fmac_f32_e32 v36, v49, v4
	v_fmac_f32_e32 v13, v46, v6
	v_add_f32_e32 v1, v63, v64
	v_sub_f32_e32 v4, v39, v16
	v_sub_f32_e32 v6, v23, v22
	;; [unrolled: 1-line block ×5, first 2 shown]
	v_mul_f32_e32 v40, 0xbeedf032, v2
	v_mul_f32_e32 v41, 0xbf52af12, v2
	;; [unrolled: 1-line block ×4, first 2 shown]
	v_add_f32_e32 v0, v0, v57
	v_mul_f32_e32 v44, 0xbf29c268, v2
	v_mul_f32_e32 v2, 0xbe750f2a, v2
	v_add_f32_e32 v3, v61, v62
	v_add_f32_e32 v5, v59, v60
	;; [unrolled: 1-line block ×5, first 2 shown]
	v_mul_f32_e32 v45, 0xbf52af12, v4
	v_mul_f32_e32 v46, 0xbf6f5d39, v4
	;; [unrolled: 1-line block ×30, first 2 shown]
	v_fmamk_f32 v85, v1, 0x3f62ad3f, v40
	v_fma_f32 v40, 0x3f62ad3f, v1, -v40
	v_fmamk_f32 v86, v1, 0x3f116cb1, v41
	v_fma_f32 v41, 0x3f116cb1, v1, -v41
	;; [unrolled: 2-line block ×4, first 2 shown]
	v_add_f32_e32 v0, v0, v36
	v_fmamk_f32 v89, v1, 0xbf3f9e67, v44
	v_fma_f32 v44, 0xbf3f9e67, v1, -v44
	v_fmamk_f32 v90, v1, 0xbf788fa5, v2
	v_fma_f32 v1, 0xbf788fa5, v1, -v2
	;; [unrolled: 2-line block ×32, first 2 shown]
	v_add_f32_e32 v32, v38, v85
	v_add_f32_e32 v40, v38, v40
	;; [unrolled: 1-line block ×78, first 2 shown]
	ds_write2_b32 v55, v4, v5 offset0:34 offset1:51
	ds_write2_b32 v55, v6, v7 offset0:68 offset1:85
	v_add_f32_e32 v4, v38, v64
	ds_write2_b32 v55, v8, v9 offset0:102 offset1:119
	ds_write2_b32 v55, v0, v1 offset0:136 offset1:153
	;; [unrolled: 1-line block ×3, first 2 shown]
	ds_write_b32 v55, v32 offset:816
	ds_write2_b32 v55, v4, v10 offset1:17
	s_waitcnt lgkmcnt(0)
	s_barrier
	buffer_gl0_inv
	ds_read2_b32 v[4:5], v27 offset1:221
	ds_read2_b32 v[8:9], v52 offset0:26 offset1:247
	ds_read2_b32 v[6:7], v53 offset0:20 offset1:241
	;; [unrolled: 1-line block ×3, first 2 shown]
	s_and_saveexec_b32 s1, s0
	s_cbranch_execz .LBB0_17
; %bb.16:
	v_add_nc_u32_e32 v0, 0x200, v27
	v_add_nc_u32_e32 v2, 0x900, v27
	;; [unrolled: 1-line block ×4, first 2 shown]
	ds_read2_b32 v[0:1], v0 offset0:8 offset1:229
	ds_read2_b32 v[2:3], v2 offset0:2 offset1:223
	;; [unrolled: 1-line block ×4, first 2 shown]
.LBB0_17:
	s_or_b32 exec_lo, exec_lo, s1
	v_add_f32_e32 v38, v50, v51
	v_add_f32_e32 v40, v51, v18
	v_sub_f32_e32 v41, v63, v64
	v_add_f32_e32 v42, v39, v16
	v_sub_f32_e32 v43, v61, v62
	v_add_f32_e32 v38, v38, v39
	v_mul_f32_e32 v39, 0x3f62ad3f, v40
	v_mul_f32_e32 v44, 0x3f116cb1, v40
	;; [unrolled: 1-line block ×4, first 2 shown]
	v_add_f32_e32 v38, v38, v23
	v_mul_f32_e32 v47, 0xbf3f9e67, v40
	v_mul_f32_e32 v40, 0xbf788fa5, v40
	;; [unrolled: 1-line block ×3, first 2 shown]
	v_fmamk_f32 v62, v41, 0x3eedf032, v39
	v_add_f32_e32 v38, v38, v21
	v_fmac_f32_e32 v39, 0xbeedf032, v41
	v_mul_f32_e32 v51, 0xbf788fa5, v42
	v_fmamk_f32 v63, v41, 0x3f52af12, v44
	v_fmac_f32_e32 v44, 0xbf52af12, v41
	v_add_f32_e32 v38, v38, v17
	v_fmamk_f32 v64, v41, 0x3f7e222b, v45
	v_fmac_f32_e32 v45, 0xbf7e222b, v41
	v_fmamk_f32 v65, v41, 0x3f6f5d39, v46
	v_fmac_f32_e32 v46, 0xbf6f5d39, v41
	v_add_f32_e32 v38, v38, v12
	v_fmamk_f32 v66, v41, 0x3f29c268, v47
	v_fmac_f32_e32 v47, 0xbf29c268, v41
	;; [unrolled: 5-line block ×3, first 2 shown]
	v_add_f32_e32 v39, v50, v39
	v_mul_f32_e32 v49, 0xbeb58ec6, v42
	v_add_f32_e32 v38, v38, v19
	v_add_f32_e32 v62, v50, v62
	;; [unrolled: 1-line block ×14, first 2 shown]
	v_fmamk_f32 v48, v43, 0x3e750f2a, v51
	v_add_f32_e32 v16, v38, v16
	v_add_f32_e32 v38, v50, v67
	v_fmac_f32_e32 v51, 0xbe750f2a, v43
	v_mul_f32_e32 v50, 0x3df6dbef, v42
	v_add_f32_e32 v22, v23, v22
	v_mul_f32_e32 v61, 0xbf3f9e67, v42
	v_fmamk_f32 v68, v43, 0x3f6f5d39, v49
	v_fmac_f32_e32 v49, 0xbf6f5d39, v43
	v_add_f32_e32 v45, v51, v45
	v_fmamk_f32 v23, v43, 0xbf7e222b, v50
	v_mul_f32_e32 v42, 0x3f62ad3f, v42
	v_fmac_f32_e32 v50, 0x3f7e222b, v43
	v_sub_f32_e32 v51, v59, v60
	v_mul_f32_e32 v59, 0x3df6dbef, v22
	v_add_f32_e32 v41, v41, v62
	v_add_f32_e32 v44, v49, v44
	v_fmamk_f32 v49, v43, 0xbf29c268, v61
	v_fmac_f32_e32 v61, 0x3f29c268, v43
	v_fmamk_f32 v60, v43, 0xbeedf032, v42
	v_fmac_f32_e32 v42, 0x3eedf032, v43
	v_add_f32_e32 v43, v50, v47
	v_fmamk_f32 v47, v51, 0x3f7e222b, v59
	v_mul_f32_e32 v50, 0xbf788fa5, v22
	v_add_f32_e32 v16, v16, v18
	v_add_f32_e32 v18, v68, v63
	;; [unrolled: 1-line block ×3, first 2 shown]
	v_fmac_f32_e32 v59, 0xbf7e222b, v51
	v_add_f32_e32 v41, v47, v41
	v_fmamk_f32 v42, v51, 0x3e750f2a, v50
	v_mul_f32_e32 v47, 0xbeb58ec6, v22
	v_add_f32_e32 v48, v48, v64
	v_fmac_f32_e32 v50, 0xbe750f2a, v51
	v_add_f32_e32 v39, v59, v39
	v_mul_f32_e32 v59, 0x3f62ad3f, v22
	v_add_f32_e32 v18, v42, v18
	v_fmamk_f32 v42, v51, 0xbf6f5d39, v47
	v_add_f32_e32 v49, v49, v65
	v_add_f32_e32 v44, v50, v44
	v_fmac_f32_e32 v47, 0x3f6f5d39, v51
	v_fmamk_f32 v50, v51, 0xbeedf032, v59
	v_add_f32_e32 v42, v42, v48
	v_mul_f32_e32 v48, 0x3f116cb1, v22
	v_add_f32_e32 v20, v21, v20
	v_add_f32_e32 v23, v23, v66
	;; [unrolled: 1-line block ×4, first 2 shown]
	v_fmamk_f32 v21, v51, 0x3f52af12, v48
	v_mul_f32_e32 v22, 0xbf3f9e67, v22
	v_fmac_f32_e32 v48, 0xbf52af12, v51
	v_sub_f32_e32 v49, v57, v58
	v_mul_f32_e32 v50, 0xbeb58ec6, v20
	v_add_f32_e32 v38, v60, v38
	v_fmac_f32_e32 v59, 0x3eedf032, v51
	v_add_f32_e32 v21, v21, v23
	v_fmamk_f32 v23, v51, 0x3f29c268, v22
	v_fmac_f32_e32 v22, 0xbf29c268, v51
	v_add_f32_e32 v43, v48, v43
	v_fmamk_f32 v48, v49, 0x3f6f5d39, v50
	v_mul_f32_e32 v51, 0xbf3f9e67, v20
	v_add_f32_e32 v23, v23, v38
	v_add_f32_e32 v22, v22, v40
	v_fmac_f32_e32 v50, 0xbf6f5d39, v49
	v_add_f32_e32 v38, v48, v41
	v_fmamk_f32 v40, v49, 0xbf29c268, v51
	v_mul_f32_e32 v41, 0x3f62ad3f, v20
	v_mul_f32_e32 v48, 0x3df6dbef, v20
	v_add_f32_e32 v46, v61, v46
	v_add_f32_e32 v39, v50, v39
	;; [unrolled: 1-line block ×3, first 2 shown]
	v_fmamk_f32 v40, v49, 0xbeedf032, v41
	v_fmac_f32_e32 v41, 0x3eedf032, v49
	v_fmamk_f32 v50, v49, 0x3f7e222b, v48
	v_add_f32_e32 v17, v17, v19
	v_add_f32_e32 v46, v59, v46
	;; [unrolled: 1-line block ×3, first 2 shown]
	v_mul_f32_e32 v42, 0xbf788fa5, v20
	v_fmac_f32_e32 v48, 0xbf7e222b, v49
	v_add_f32_e32 v41, v41, v45
	v_add_f32_e32 v45, v50, v47
	v_mul_f32_e32 v20, 0x3f116cb1, v20
	v_fmamk_f32 v19, v49, 0xbe750f2a, v42
	v_fmac_f32_e32 v42, 0x3e750f2a, v49
	v_sub_f32_e32 v36, v36, v56
	v_mul_f32_e32 v47, 0xbf3f9e67, v17
	v_add_f32_e32 v46, v48, v46
	v_add_f32_e32 v19, v19, v21
	v_fmamk_f32 v21, v49, 0xbf52af12, v20
	v_add_f32_e32 v42, v42, v43
	v_fmac_f32_e32 v20, 0x3f52af12, v49
	v_fmamk_f32 v43, v36, 0x3f29c268, v47
	v_mul_f32_e32 v48, 0x3df6dbef, v17
	v_add_f32_e32 v21, v21, v23
	v_fmac_f32_e32 v47, 0xbf29c268, v36
	v_add_f32_e32 v20, v20, v22
	v_add_f32_e32 v22, v43, v38
	v_fmamk_f32 v23, v36, 0xbf7e222b, v48
	v_mul_f32_e32 v38, 0x3f116cb1, v17
	v_mul_f32_e32 v43, 0xbf788fa5, v17
	v_add_f32_e32 v39, v47, v39
	v_add_f32_e32 v12, v12, v14
	;; [unrolled: 1-line block ×3, first 2 shown]
	v_fmamk_f32 v23, v36, 0x3f52af12, v38
	v_fmac_f32_e32 v38, 0xbf52af12, v36
	v_fmamk_f32 v47, v36, 0xbe750f2a, v43
	v_mul_f32_e32 v14, 0xbeb58ec6, v17
	v_fmac_f32_e32 v51, 0x3f29c268, v49
	v_add_f32_e32 v23, v23, v40
	v_mul_f32_e32 v40, 0x3f62ad3f, v17
	v_add_f32_e32 v38, v38, v41
	v_add_f32_e32 v41, v47, v45
	v_sub_f32_e32 v13, v13, v15
	v_mul_f32_e32 v15, 0xbf788fa5, v12
	v_fmamk_f32 v17, v36, 0xbeedf032, v40
	v_fmac_f32_e32 v40, 0x3eedf032, v36
	v_fmamk_f32 v45, v36, 0x3f6f5d39, v14
	v_fmac_f32_e32 v14, 0xbf6f5d39, v36
	v_add_f32_e32 v44, v51, v44
	v_add_f32_e32 v17, v17, v19
	;; [unrolled: 1-line block ×3, first 2 shown]
	v_mul_f32_e32 v40, 0x3f62ad3f, v12
	v_fmac_f32_e32 v48, 0x3f7e222b, v36
	v_fmac_f32_e32 v43, 0x3e750f2a, v36
	v_fmamk_f32 v36, v13, 0x3e750f2a, v15
	v_fmac_f32_e32 v15, 0xbe750f2a, v13
	v_add_f32_e32 v20, v14, v20
	v_mul_f32_e32 v14, 0xbf3f9e67, v12
	v_fmamk_f32 v42, v13, 0xbeedf032, v40
	v_add_f32_e32 v44, v48, v44
	v_add_f32_e32 v21, v45, v21
	;; [unrolled: 1-line block ×4, first 2 shown]
	v_fmac_f32_e32 v40, 0x3eedf032, v13
	v_mul_f32_e32 v39, 0x3f116cb1, v12
	v_fmamk_f32 v45, v13, 0x3f29c268, v14
	v_fmac_f32_e32 v14, 0xbf29c268, v13
	v_add_f32_e32 v18, v42, v18
	v_mul_f32_e32 v42, 0xbeb58ec6, v12
	v_add_f32_e32 v15, v40, v44
	v_fmamk_f32 v40, v13, 0xbf52af12, v39
	v_add_f32_e32 v14, v14, v38
	v_mul_f32_e32 v38, 0x3df6dbef, v12
	v_fmamk_f32 v12, v13, 0x3f6f5d39, v42
	v_fmac_f32_e32 v42, 0xbf6f5d39, v13
	v_add_f32_e32 v40, v40, v41
	v_add_f32_e32 v43, v43, v46
	v_fmamk_f32 v41, v13, 0xbf7e222b, v38
	v_fmac_f32_e32 v38, 0x3f7e222b, v13
	v_fmac_f32_e32 v39, 0x3f52af12, v13
	v_add_f32_e32 v23, v45, v23
	v_add_f32_e32 v17, v12, v17
	;; [unrolled: 1-line block ×6, first 2 shown]
	s_waitcnt lgkmcnt(0)
	s_barrier
	buffer_gl0_inv
	ds_write2_b32 v55, v16, v22 offset1:17
	ds_write2_b32 v55, v18, v23 offset0:34 offset1:51
	ds_write2_b32 v55, v40, v17 offset0:68 offset1:85
	;; [unrolled: 1-line block ×5, first 2 shown]
	ds_write_b32 v55, v36 offset:816
	s_waitcnt lgkmcnt(0)
	s_barrier
	buffer_gl0_inv
	ds_read2_b32 v[38:39], v27 offset1:221
	ds_read2_b32 v[40:41], v52 offset0:26 offset1:247
	ds_read2_b32 v[44:45], v53 offset0:20 offset1:241
	ds_read2_b32 v[42:43], v54 offset0:14 offset1:235
	s_and_saveexec_b32 s1, s0
	s_cbranch_execz .LBB0_19
; %bb.18:
	v_add_nc_u32_e32 v12, 0x200, v27
	v_add_nc_u32_e32 v14, 0x900, v27
	;; [unrolled: 1-line block ×4, first 2 shown]
	ds_read2_b32 v[12:13], v12 offset0:8 offset1:229
	ds_read2_b32 v[14:15], v14 offset0:2 offset1:223
	;; [unrolled: 1-line block ×4, first 2 shown]
.LBB0_19:
	s_or_b32 exec_lo, exec_lo, s1
	s_and_saveexec_b32 s1, vcc_lo
	s_cbranch_execz .LBB0_22
; %bb.20:
	v_mul_u32_u24_e32 v16, 7, v26
	v_mul_lo_u32 v18, s3, v28
	v_mul_lo_u32 v19, s2, v29
	v_mov_b32_e32 v27, 0
	v_lshlrev_b32_e32 v16, 3, v16
	s_clause 0x3
	global_load_dwordx4 v[46:49], v16, s[8:9] offset:1648
	global_load_dwordx4 v[50:53], v16, s[8:9] offset:1632
	global_load_dwordx4 v[54:57], v16, s[8:9] offset:1664
	global_load_dwordx2 v[58:59], v16, s[8:9] offset:1680
	v_mad_u64_u32 v[16:17], null, s2, v28, 0
	v_add3_u32 v17, v17, v19, v18
	v_lshlrev_b64 v[18:19], 3, v[24:25]
	v_lshlrev_b64 v[16:17], 3, v[16:17]
	v_add_co_u32 v20, vcc_lo, s14, v16
	v_add_co_ci_u32_e32 v21, vcc_lo, s15, v17, vcc_lo
	v_lshlrev_b64 v[16:17], 3, v[26:27]
	v_add_co_u32 v18, vcc_lo, v20, v18
	v_add_co_ci_u32_e32 v19, vcc_lo, v21, v19, vcc_lo
	v_add_co_u32 v16, vcc_lo, v18, v16
	v_add_co_ci_u32_e32 v17, vcc_lo, v19, v17, vcc_lo
	;; [unrolled: 2-line block ×7, first 2 shown]
	s_waitcnt vmcnt(3)
	v_mul_f32_e32 v60, v6, v49
	s_waitcnt vmcnt(2)
	v_mul_f32_e32 v61, v8, v52
	;; [unrolled: 2-line block ×3, first 2 shown]
	v_mul_f32_e32 v63, v5, v51
	v_mul_f32_e32 v64, v7, v55
	;; [unrolled: 1-line block ×3, first 2 shown]
	s_waitcnt vmcnt(0)
	v_mul_f32_e32 v66, v11, v58
	v_mul_f32_e32 v9, v9, v47
	;; [unrolled: 1-line block ×3, first 2 shown]
	s_waitcnt lgkmcnt(3)
	v_mul_f32_e32 v51, v39, v51
	s_waitcnt lgkmcnt(1)
	v_mul_f32_e32 v55, v45, v55
	v_mul_f32_e32 v8, v8, v53
	;; [unrolled: 1-line block ×4, first 2 shown]
	v_fma_f32 v44, v44, v48, -v60
	v_fmac_f32_e32 v61, v40, v53
	s_waitcnt lgkmcnt(0)
	v_fmac_f32_e32 v62, v42, v57
	v_fma_f32 v39, v39, v50, -v63
	v_fma_f32 v45, v45, v54, -v64
	v_fmac_f32_e32 v65, v41, v47
	v_fmac_f32_e32 v66, v43, v59
	v_fma_f32 v9, v41, v46, -v9
	v_fma_f32 v11, v43, v58, -v11
	v_fmac_f32_e32 v51, v5, v50
	;; [unrolled: 4-line block ×3, first 2 shown]
	v_sub_f32_e32 v10, v38, v44
	v_sub_f32_e32 v8, v61, v62
	v_sub_f32_e32 v40, v39, v45
	v_sub_f32_e32 v41, v65, v66
	v_sub_f32_e32 v11, v9, v11
	v_sub_f32_e32 v42, v51, v55
	v_sub_f32_e32 v43, v7, v5
	v_sub_f32_e32 v44, v4, v49
	v_sub_f32_e32 v45, v10, v8
	v_sub_f32_e32 v46, v40, v41
	v_add_f32_e32 v47, v42, v11
	v_fma_f32 v49, v38, 2.0, -v10
	v_add_f32_e32 v48, v44, v43
	v_fma_f32 v38, v7, 2.0, -v43
	v_fma_f32 v43, v51, 2.0, -v42
	;; [unrolled: 1-line block ×7, first 2 shown]
	v_fmamk_f32 v8, v46, 0x3f3504f3, v45
	v_fmamk_f32 v7, v47, 0x3f3504f3, v48
	v_sub_f32_e32 v11, v49, v38
	v_sub_f32_e32 v41, v43, v41
	;; [unrolled: 1-line block ×4, first 2 shown]
	v_fma_f32 v53, v10, 2.0, -v45
	v_fma_f32 v54, v40, 2.0, -v46
	;; [unrolled: 1-line block ×4, first 2 shown]
	v_fmac_f32_e32 v8, 0xbf3504f3, v47
	v_fmac_f32_e32 v7, 0x3f3504f3, v46
	v_fma_f32 v46, v49, 2.0, -v11
	v_fma_f32 v44, v51, 2.0, -v52
	v_fma_f32 v4, v4, 2.0, -v50
	v_fma_f32 v47, v43, 2.0, -v41
	v_sub_f32_e32 v10, v11, v41
	v_add_f32_e32 v9, v50, v52
	v_fmamk_f32 v39, v54, 0xbf3504f3, v53
	v_fmamk_f32 v38, v55, 0xbf3504f3, v56
	v_add_co_u32 v5, vcc_lo, 0x3000, v16
	v_fma_f32 v41, v45, 2.0, -v8
	v_sub_f32_e32 v45, v46, v44
	v_sub_f32_e32 v44, v4, v47
	v_add_co_ci_u32_e32 v6, vcc_lo, 0, v17, vcc_lo
	v_fma_f32 v43, v11, 2.0, -v10
	v_fma_f32 v42, v50, 2.0, -v9
	v_fmac_f32_e32 v39, 0xbf3504f3, v55
	v_fmac_f32_e32 v38, 0x3f3504f3, v54
	v_fma_f32 v40, v48, 2.0, -v7
	v_fma_f32 v47, v46, 2.0, -v45
	;; [unrolled: 1-line block ×3, first 2 shown]
	global_store_dwordx2 v[28:29], v[9:10], off offset:368
	v_fma_f32 v10, v53, 2.0, -v39
	v_fma_f32 v9, v56, 2.0, -v38
	global_store_dwordx2 v[18:19], v[42:43], off offset:1488
	global_store_dwordx2 v[20:21], v[40:41], off offset:1208
	;; [unrolled: 1-line block ×4, first 2 shown]
	global_store_dwordx2 v[16:17], v[46:47], off
	global_store_dwordx2 v[16:17], v[9:10], off offset:1768
	global_store_dwordx2 v[5:6], v[7:8], off offset:88
	s_and_b32 exec_lo, exec_lo, s0
	s_cbranch_execz .LBB0_22
; %bb.21:
	v_mov_b32_e32 v4, 0x88
	v_cndmask_b32_e64 v4, 0xffffffab, v4, s0
	v_add_nc_u32_e32 v4, v26, v4
	v_mul_i32_i24_e32 v26, 7, v4
	v_lshlrev_b64 v[7:8], 3, v[26:27]
	v_add_co_u32 v26, vcc_lo, s8, v7
	v_add_co_ci_u32_e32 v27, vcc_lo, s9, v8, vcc_lo
	s_clause 0x3
	global_load_dwordx4 v[7:10], v[26:27], off offset:1632
	global_load_dwordx4 v[38:41], v[26:27], off offset:1648
	;; [unrolled: 1-line block ×3, first 2 shown]
	global_load_dwordx2 v[26:27], v[26:27], off offset:1680
	s_waitcnt vmcnt(3)
	v_mul_f32_e32 v4, v13, v8
	v_mul_f32_e32 v8, v1, v8
	v_mul_f32_e32 v11, v14, v10
	v_mul_f32_e32 v10, v2, v10
	s_waitcnt vmcnt(2)
	v_mul_f32_e32 v46, v15, v39
	v_mul_f32_e32 v39, v3, v39
	v_mul_f32_e32 v47, v36, v41
	v_mul_f32_e32 v41, v32, v41
	;; [unrolled: 5-line block ×3, first 2 shown]
	s_waitcnt vmcnt(0)
	v_mul_f32_e32 v50, v35, v27
	v_mul_f32_e32 v27, v31, v27
	v_fmac_f32_e32 v4, v1, v7
	v_fma_f32 v1, v13, v7, -v8
	v_fmac_f32_e32 v11, v2, v9
	v_fma_f32 v2, v14, v9, -v10
	;; [unrolled: 2-line block ×7, first 2 shown]
	v_sub_f32_e32 v13, v0, v47
	v_sub_f32_e32 v7, v12, v7
	v_sub_f32_e32 v14, v11, v49
	v_sub_f32_e32 v9, v2, v9
	v_sub_f32_e32 v15, v4, v48
	v_sub_f32_e32 v8, v1, v8
	v_sub_f32_e32 v26, v46, v50
	v_sub_f32_e32 v10, v3, v10
	v_fma_f32 v27, v0, 2.0, -v13
	v_fma_f32 v12, v12, 2.0, -v7
	;; [unrolled: 1-line block ×8, first 2 shown]
	v_add_f32_e32 v30, v13, v9
	v_sub_f32_e32 v14, v7, v14
	v_add_f32_e32 v9, v15, v10
	v_sub_f32_e32 v10, v8, v26
	v_sub_f32_e32 v26, v27, v0
	;; [unrolled: 1-line block ×3, first 2 shown]
	v_fma_f32 v32, v13, 2.0, -v30
	v_fma_f32 v33, v7, 2.0, -v14
	v_sub_f32_e32 v13, v4, v1
	v_sub_f32_e32 v7, v11, v3
	v_fma_f32 v15, v15, 2.0, -v9
	v_fma_f32 v34, v8, 2.0, -v10
	v_fmamk_f32 v0, v9, 0x3f3504f3, v30
	v_fmamk_f32 v1, v10, 0x3f3504f3, v14
	v_fma_f32 v27, v27, 2.0, -v26
	v_fma_f32 v35, v12, 2.0, -v31
	;; [unrolled: 1-line block ×4, first 2 shown]
	v_fmamk_f32 v2, v15, 0xbf3504f3, v32
	v_fmamk_f32 v3, v34, 0xbf3504f3, v33
	v_add_f32_e32 v7, v26, v7
	v_sub_f32_e32 v8, v31, v13
	v_fmac_f32_e32 v0, 0x3f3504f3, v10
	v_fmac_f32_e32 v1, 0xbf3504f3, v9
	v_sub_f32_e32 v9, v27, v4
	v_sub_f32_e32 v10, v35, v11
	v_fmac_f32_e32 v2, 0x3f3504f3, v34
	v_fmac_f32_e32 v3, 0xbf3504f3, v15
	v_fma_f32 v11, v26, 2.0, -v7
	v_fma_f32 v12, v31, 2.0, -v8
	;; [unrolled: 1-line block ×4, first 2 shown]
	global_store_dwordx2 v[28:29], v[7:8], off offset:1456
	v_fma_f32 v7, v27, 2.0, -v9
	v_fma_f32 v8, v35, 2.0, -v10
	;; [unrolled: 1-line block ×4, first 2 shown]
	global_store_dwordx2 v[20:21], v[11:12], off offset:528
	global_store_dwordx2 v[22:23], v[13:14], off offset:248
	;; [unrolled: 1-line block ×7, first 2 shown]
.LBB0_22:
	s_endpgm
	.section	.rodata,"a",@progbits
	.p2align	6, 0x0
	.amdhsa_kernel fft_rtc_back_len1768_factors_17_13_8_wgs_136_tpt_136_halfLds_sp_op_CI_CI_unitstride_sbrr_dirReg
		.amdhsa_group_segment_fixed_size 0
		.amdhsa_private_segment_fixed_size 0
		.amdhsa_kernarg_size 104
		.amdhsa_user_sgpr_count 6
		.amdhsa_user_sgpr_private_segment_buffer 1
		.amdhsa_user_sgpr_dispatch_ptr 0
		.amdhsa_user_sgpr_queue_ptr 0
		.amdhsa_user_sgpr_kernarg_segment_ptr 1
		.amdhsa_user_sgpr_dispatch_id 0
		.amdhsa_user_sgpr_flat_scratch_init 0
		.amdhsa_user_sgpr_private_segment_size 0
		.amdhsa_wavefront_size32 1
		.amdhsa_uses_dynamic_stack 0
		.amdhsa_system_sgpr_private_segment_wavefront_offset 0
		.amdhsa_system_sgpr_workgroup_id_x 1
		.amdhsa_system_sgpr_workgroup_id_y 0
		.amdhsa_system_sgpr_workgroup_id_z 0
		.amdhsa_system_sgpr_workgroup_info 0
		.amdhsa_system_vgpr_workitem_id 0
		.amdhsa_next_free_vgpr 116
		.amdhsa_next_free_sgpr 27
		.amdhsa_reserve_vcc 1
		.amdhsa_reserve_flat_scratch 0
		.amdhsa_float_round_mode_32 0
		.amdhsa_float_round_mode_16_64 0
		.amdhsa_float_denorm_mode_32 3
		.amdhsa_float_denorm_mode_16_64 3
		.amdhsa_dx10_clamp 1
		.amdhsa_ieee_mode 1
		.amdhsa_fp16_overflow 0
		.amdhsa_workgroup_processor_mode 1
		.amdhsa_memory_ordered 1
		.amdhsa_forward_progress 0
		.amdhsa_shared_vgpr_count 0
		.amdhsa_exception_fp_ieee_invalid_op 0
		.amdhsa_exception_fp_denorm_src 0
		.amdhsa_exception_fp_ieee_div_zero 0
		.amdhsa_exception_fp_ieee_overflow 0
		.amdhsa_exception_fp_ieee_underflow 0
		.amdhsa_exception_fp_ieee_inexact 0
		.amdhsa_exception_int_div_zero 0
	.end_amdhsa_kernel
	.text
.Lfunc_end0:
	.size	fft_rtc_back_len1768_factors_17_13_8_wgs_136_tpt_136_halfLds_sp_op_CI_CI_unitstride_sbrr_dirReg, .Lfunc_end0-fft_rtc_back_len1768_factors_17_13_8_wgs_136_tpt_136_halfLds_sp_op_CI_CI_unitstride_sbrr_dirReg
                                        ; -- End function
	.section	.AMDGPU.csdata,"",@progbits
; Kernel info:
; codeLenInByte = 11756
; NumSgprs: 29
; NumVgprs: 116
; ScratchSize: 0
; MemoryBound: 0
; FloatMode: 240
; IeeeMode: 1
; LDSByteSize: 0 bytes/workgroup (compile time only)
; SGPRBlocks: 3
; VGPRBlocks: 14
; NumSGPRsForWavesPerEU: 29
; NumVGPRsForWavesPerEU: 116
; Occupancy: 8
; WaveLimiterHint : 1
; COMPUTE_PGM_RSRC2:SCRATCH_EN: 0
; COMPUTE_PGM_RSRC2:USER_SGPR: 6
; COMPUTE_PGM_RSRC2:TRAP_HANDLER: 0
; COMPUTE_PGM_RSRC2:TGID_X_EN: 1
; COMPUTE_PGM_RSRC2:TGID_Y_EN: 0
; COMPUTE_PGM_RSRC2:TGID_Z_EN: 0
; COMPUTE_PGM_RSRC2:TIDIG_COMP_CNT: 0
	.text
	.p2alignl 6, 3214868480
	.fill 48, 4, 3214868480
	.type	__hip_cuid_3b10046947127969,@object ; @__hip_cuid_3b10046947127969
	.section	.bss,"aw",@nobits
	.globl	__hip_cuid_3b10046947127969
__hip_cuid_3b10046947127969:
	.byte	0                               ; 0x0
	.size	__hip_cuid_3b10046947127969, 1

	.ident	"AMD clang version 19.0.0git (https://github.com/RadeonOpenCompute/llvm-project roc-6.4.0 25133 c7fe45cf4b819c5991fe208aaa96edf142730f1d)"
	.section	".note.GNU-stack","",@progbits
	.addrsig
	.addrsig_sym __hip_cuid_3b10046947127969
	.amdgpu_metadata
---
amdhsa.kernels:
  - .args:
      - .actual_access:  read_only
        .address_space:  global
        .offset:         0
        .size:           8
        .value_kind:     global_buffer
      - .offset:         8
        .size:           8
        .value_kind:     by_value
      - .actual_access:  read_only
        .address_space:  global
        .offset:         16
        .size:           8
        .value_kind:     global_buffer
      - .actual_access:  read_only
        .address_space:  global
        .offset:         24
        .size:           8
        .value_kind:     global_buffer
      - .actual_access:  read_only
        .address_space:  global
        .offset:         32
        .size:           8
        .value_kind:     global_buffer
      - .offset:         40
        .size:           8
        .value_kind:     by_value
      - .actual_access:  read_only
        .address_space:  global
        .offset:         48
        .size:           8
        .value_kind:     global_buffer
      - .actual_access:  read_only
        .address_space:  global
        .offset:         56
        .size:           8
        .value_kind:     global_buffer
      - .offset:         64
        .size:           4
        .value_kind:     by_value
      - .actual_access:  read_only
        .address_space:  global
        .offset:         72
        .size:           8
        .value_kind:     global_buffer
      - .actual_access:  read_only
        .address_space:  global
        .offset:         80
        .size:           8
        .value_kind:     global_buffer
      - .actual_access:  read_only
        .address_space:  global
        .offset:         88
        .size:           8
        .value_kind:     global_buffer
      - .actual_access:  write_only
        .address_space:  global
        .offset:         96
        .size:           8
        .value_kind:     global_buffer
    .group_segment_fixed_size: 0
    .kernarg_segment_align: 8
    .kernarg_segment_size: 104
    .language:       OpenCL C
    .language_version:
      - 2
      - 0
    .max_flat_workgroup_size: 136
    .name:           fft_rtc_back_len1768_factors_17_13_8_wgs_136_tpt_136_halfLds_sp_op_CI_CI_unitstride_sbrr_dirReg
    .private_segment_fixed_size: 0
    .sgpr_count:     29
    .sgpr_spill_count: 0
    .symbol:         fft_rtc_back_len1768_factors_17_13_8_wgs_136_tpt_136_halfLds_sp_op_CI_CI_unitstride_sbrr_dirReg.kd
    .uniform_work_group_size: 1
    .uses_dynamic_stack: false
    .vgpr_count:     116
    .vgpr_spill_count: 0
    .wavefront_size: 32
    .workgroup_processor_mode: 1
amdhsa.target:   amdgcn-amd-amdhsa--gfx1030
amdhsa.version:
  - 1
  - 2
...

	.end_amdgpu_metadata
